;; amdgpu-corpus repo=ROCm/bitsandbytes kind=harvested arch=n/a opt=n/a
	.text
	.amdgcn_target "amdgcn-amd-amdhsa--gfx942"
	.amdhsa_code_object_version 6
	.protected	_Z9kQuantizePfS_Phi     ; -- Begin function _Z9kQuantizePfS_Phi
	.globl	_Z9kQuantizePfS_Phi
	.p2align	8
	.type	_Z9kQuantizePfS_Phi,@function
_Z9kQuantizePfS_Phi:                    ; @_Z9kQuantizePfS_Phi
; %bb.0:
	s_movk_i32 s3, 0x100
	v_cmp_gt_u32_e32 vcc, s3, v0
	v_lshlrev_b32_e32 v1, 2, v0
	s_and_saveexec_b64 s[4:5], vcc
	s_cbranch_execz .LBB0_2
; %bb.1:
	s_load_dwordx2 s[6:7], s[0:1], 0x0
	s_waitcnt lgkmcnt(0)
	global_load_dword v2, v1, s[6:7]
	s_waitcnt vmcnt(0)
	ds_write_b32 v1, v2 offset:21120
.LBB0_2:
	s_or_b64 exec, exec, s[4:5]
	s_load_dword s3, s[0:1], 0x18
	s_mov_b32 s13, 0
	s_waitcnt lgkmcnt(0)
	s_ashr_i32 s4, s3, 31
	s_lshr_b32 s4, s4, 20
	s_add_i32 s4, s3, s4
	s_and_b32 s5, s3, 0xfff
	s_and_b32 s6, s4, 0xfffff000
	s_cmp_lg_u32 s5, 0
	s_cselect_b64 s[4:5], -1, 0
	v_cndmask_b32_e64 v2, 0, 1, s[4:5]
	s_lshl_b32 s12, s2, 12
	v_readfirstlane_b32 s4, v2
	s_lshl_b32 s16, s4, 12
	s_add_i32 s16, s16, s6
	s_cmp_ge_u32 s12, s16
	s_cbranch_scc1 .LBB0_61
; %bb.3:
	s_load_dwordx4 s[4:7], s[0:1], 0x8
	s_load_dword s2, s[0:1], 0x20
	v_mbcnt_lo_u32_b32 v2, -1, 0
	v_mbcnt_hi_u32_b32 v4, -1, v2
	v_and_b32_e32 v0, 0x3c0, v0
	v_and_b32_e32 v2, 0xf00, v1
	v_mov_b32_e32 v5, 0
	v_add_u32_e32 v0, v4, v0
	v_lshlrev_b32_e32 v6, 2, v4
	v_mov_b32_e32 v7, v5
	v_or_b32_e32 v12, v4, v2
	v_lshlrev_b32_e32 v11, 2, v0
	v_bfe_u32 v0, v0, 3, 27
	s_waitcnt lgkmcnt(0)
	v_lshl_add_u64 v[6:7], s[4:5], 0, v[6:7]
	v_lshlrev_b32_e32 v8, 2, v2
	v_mov_b32_e32 v9, v5
	v_add_u32_e32 v13, 64, v12
	v_lshrrev_b32_e32 v1, 5, v12
	v_add_lshl_u32 v20, v0, v11, 2
	v_and_b32_e32 v0, 0xfc, v0
	v_lshl_add_u64 v[6:7], v[6:7], 0, v[8:9]
	v_or_b32_e32 v14, 0x80, v12
	v_lshrrev_b32_e32 v8, 5, v13
	v_add_u32_e32 v21, v0, v11
	v_and_b32_e32 v0, 0x78, v1
	v_add_u32_e32 v15, 0xc0, v12
	v_lshrrev_b32_e32 v9, 5, v14
	v_add_u32_e32 v22, v0, v12
	v_and_b32_e32 v0, 0x7c, v8
	v_lshrrev_b32_e32 v10, 5, v15
	v_add_u32_e32 v23, v0, v13
	v_and_b32_e32 v0, 0x7c, v9
	v_add_u32_e32 v24, v0, v14
	v_and_b32_e32 v0, 0xfc, v10
	v_mov_b32_e32 v3, v5
	v_add_lshl_u32 v16, v1, v12, 2
	v_add_u32_e32 v25, v0, v15
	v_lshl_add_u64 v[0:1], s[6:7], 0, v[4:5]
	v_add_lshl_u32 v17, v8, v13, 2
	v_add_lshl_u32 v18, v9, v14, 2
	;; [unrolled: 1-line block ×3, first 2 shown]
	v_lshl_add_u64 v[8:9], v[0:1], 0, v[2:3]
	s_lshl_b32 s17, s2, 12
	s_sub_i32 s18, s3, s12
	s_movk_i32 s19, 0xff
	s_movk_i32 s20, 0x5200
	v_mov_b32_e32 v4, 0x7f
	v_mov_b32_e32 v26, 0xbf
	v_not_b32_e32 v27, 31
	v_mov_b32_e32 v28, 0xff
                                        ; implicit-def: $vgpr0_vgpr1_vgpr2_vgpr3
	s_branch .LBB0_5
.LBB0_4:                                ;   in Loop: Header=BB0_5 Depth=1
	s_or_b64 exec, exec, s[0:1]
	s_add_i32 s12, s12, s17
	s_sub_i32 s18, s18, s17
	s_cmp_ge_u32 s12, s16
	s_cbranch_scc1 .LBB0_61
.LBB0_5:                                ; =>This Inner Loop Header: Depth=1
	s_min_u32 s6, s18, 0x1000
	v_lshl_add_u64 v[10:11], s[12:13], 2, v[6:7]
	v_cmp_gt_u32_e32 vcc, s6, v12
	s_barrier
	s_and_saveexec_b64 s[0:1], vcc
	s_cbranch_execnz .LBB0_54
; %bb.6:                                ;   in Loop: Header=BB0_5 Depth=1
	s_or_b64 exec, exec, s[0:1]
	v_cmp_gt_u32_e64 s[0:1], s6, v13
	s_and_saveexec_b64 s[2:3], s[0:1]
	s_cbranch_execnz .LBB0_55
.LBB0_7:                                ;   in Loop: Header=BB0_5 Depth=1
	s_or_b64 exec, exec, s[2:3]
	v_cmp_gt_u32_e64 s[2:3], s6, v14
	s_and_saveexec_b64 s[4:5], s[2:3]
	s_cbranch_execnz .LBB0_56
.LBB0_8:                                ;   in Loop: Header=BB0_5 Depth=1
	s_or_b64 exec, exec, s[4:5]
	v_cmp_gt_u32_e64 s[4:5], s6, v15
	s_and_saveexec_b64 s[6:7], s[4:5]
	s_cbranch_execz .LBB0_10
.LBB0_9:                                ;   in Loop: Header=BB0_5 Depth=1
	global_load_dword v3, v[10:11], off offset:768
.LBB0_10:                               ;   in Loop: Header=BB0_5 Depth=1
	s_or_b64 exec, exec, s[6:7]
	s_waitcnt vmcnt(0)
	ds_write_b32 v16, v0
	ds_write_b32 v17, v1
	;; [unrolled: 1-line block ×4, first 2 shown]
	v_add_u32_e64 v0, s20, 0
	; wave barrier
	ds_read2_b32 v[10:11], v0 offset0:32 offset1:159
	ds_read2_b32 v[0:1], v20 offset1:1
	ds_read2_b32 v[2:3], v20 offset0:2 offset1:3
	s_waitcnt lgkmcnt(7)
	ds_read_b32 v29, v5 offset:22140
	v_mov_b32_e32 v38, -16
	s_waitcnt lgkmcnt(2)
	v_cmp_lt_f32_e64 s[6:7], v11, v0
	s_nop 1
	v_cndmask_b32_e64 v36, 63, v26, s[6:7]
	v_lshlrev_b32_e32 v30, 2, v36
	ds_read_b32 v37, v30 offset:21120
	v_add_u32_e32 v30, 0x5280, v30
	v_cndmask_b32_e64 v31, 0, v4, s[6:7]
	v_cndmask_b32_e64 v34, -1.0, v11, s[6:7]
	s_waitcnt lgkmcnt(0)
	v_cmp_lt_f32_e64 s[8:9], v37, v0
	s_nop 1
	v_cndmask_b32_e64 v35, v27, 32, s[8:9]
	v_lshl_add_u32 v33, v35, 2, v30
	ds_read_b32 v30, v33
	v_add_u32_e32 v35, v35, v36
	v_cndmask_b32_e64 v32, v31, v36, s[8:9]
	v_cndmask_b32_e64 v34, v34, v37, s[8:9]
	v_mov_b32_e32 v31, v35
	s_waitcnt lgkmcnt(0)
	v_cmp_lt_f32_e64 s[10:11], v30, v0
	s_and_saveexec_b64 s[14:15], s[10:11]
; %bb.11:                               ;   in Loop: Header=BB0_5 Depth=1
	v_cndmask_b32_e64 v31, v4, v28, s[6:7]
	v_cndmask_b32_e64 v32, v11, 1.0, s[6:7]
	v_cndmask_b32_e64 v31, v36, v31, s[8:9]
	v_cndmask_b32_e64 v36, v37, v32, s[8:9]
	v_mov_b32_e32 v38, 16
	v_mov_b32_e32 v32, v35
	;; [unrolled: 1-line block ×4, first 2 shown]
; %bb.12:                               ;   in Loop: Header=BB0_5 Depth=1
	s_or_b64 exec, exec, s[14:15]
	v_lshl_add_u32 v33, v38, 2, v33
	ds_read_b32 v39, v33
	v_add_u32_e32 v40, v38, v35
	v_mov_b32_e32 v38, -4
	s_waitcnt lgkmcnt(0)
	v_cmp_lt_f32_e64 s[6:7], v39, v0
	s_nop 1
	v_cndmask_b32_e64 v37, -8, 8, s[6:7]
	v_lshl_add_u32 v35, v37, 2, v33
	ds_read_b32 v33, v35
	v_add_u32_e32 v37, v37, v40
	v_cndmask_b32_e64 v32, v32, v40, s[6:7]
	v_cndmask_b32_e64 v36, v34, v39, s[6:7]
	v_mov_b32_e32 v34, v37
	s_waitcnt lgkmcnt(0)
	v_cmp_lt_f32_e64 s[8:9], v33, v0
	s_and_saveexec_b64 s[10:11], s[8:9]
; %bb.13:                               ;   in Loop: Header=BB0_5 Depth=1
	v_cndmask_b32_e64 v30, v39, v30, s[6:7]
	v_cndmask_b32_e64 v34, v40, v31, s[6:7]
	v_mov_b32_e32 v38, 4
	v_mov_b32_e32 v32, v37
	;; [unrolled: 1-line block ×4, first 2 shown]
; %bb.14:                               ;   in Loop: Header=BB0_5 Depth=1
	s_or_b64 exec, exec, s[10:11]
	v_lshl_add_u32 v30, v38, 2, v35
	ds_read_b32 v39, v30
	v_add_u32_e32 v40, v38, v37
	v_mov_b32_e32 v38, -1
	s_waitcnt lgkmcnt(0)
	v_cmp_lt_f32_e64 s[6:7], v39, v0
	s_nop 1
	v_cndmask_b32_e64 v37, -2, 2, s[6:7]
	v_lshl_add_u32 v30, v37, 2, v30
	ds_read_b32 v31, v30
	v_add_u32_e32 v37, v37, v40
	v_cndmask_b32_e64 v35, v32, v40, s[6:7]
	v_cndmask_b32_e64 v36, v36, v39, s[6:7]
	v_mov_b32_e32 v32, v37
	s_waitcnt lgkmcnt(0)
	v_cmp_lt_f32_e64 s[8:9], v31, v0
	s_and_saveexec_b64 s[10:11], s[8:9]
; %bb.15:                               ;   in Loop: Header=BB0_5 Depth=1
	v_cndmask_b32_e64 v33, v39, v33, s[6:7]
	v_cndmask_b32_e64 v32, v40, v34, s[6:7]
	v_mov_b32_e32 v38, 1
	v_mov_b32_e32 v35, v37
	;; [unrolled: 1-line block ×4, first 2 shown]
; %bb.16:                               ;   in Loop: Header=BB0_5 Depth=1
	s_or_b64 exec, exec, s[10:11]
	v_lshl_add_u32 v30, v38, 2, v30
	ds_read_b32 v34, v30
	v_add_u32_e32 v33, v38, v37
                                        ; implicit-def: $vgpr30
	s_waitcnt lgkmcnt(0)
	v_cmp_nlt_f32_e64 s[6:7], v34, v0
	s_and_saveexec_b64 s[8:9], s[6:7]
	s_xor_b64 s[8:9], exec, s[8:9]
; %bb.17:                               ;   in Loop: Header=BB0_5 Depth=1
	v_cmp_eq_u32_e64 s[6:7], 0, v35
                                        ; implicit-def: $vgpr32
                                        ; implicit-def: $vgpr31
	s_nop 1
	v_cndmask_b32_e64 v30, v36, v10, s[6:7]
	v_add_f32_e32 v30, v34, v30
	v_mul_f32_e32 v30, 0.5, v30
	v_cmp_gt_f32_e64 s[6:7], v30, v0
                                        ; implicit-def: $vgpr34
	s_nop 1
	v_cndmask_b32_e64 v30, v33, v35, s[6:7]
                                        ; implicit-def: $vgpr33
; %bb.18:                               ;   in Loop: Header=BB0_5 Depth=1
	s_andn2_saveexec_b64 s[8:9], s[8:9]
; %bb.19:                               ;   in Loop: Header=BB0_5 Depth=1
	v_cmp_eq_u32_e64 s[6:7], s19, v32
	s_nop 1
	v_cndmask_b32_e64 v30, v31, v29, s[6:7]
	v_add_f32_e32 v30, v34, v30
	v_mul_f32_e32 v30, 0.5, v30
	v_cmp_lt_f32_e64 s[6:7], v30, v0
	s_nop 1
	v_cndmask_b32_e64 v30, v33, v32, s[6:7]
; %bb.20:                               ;   in Loop: Header=BB0_5 Depth=1
	s_or_b64 exec, exec, s[8:9]
	v_cmp_lt_f32_e64 s[6:7], v11, v1
	v_mov_b32_e32 v33, -16
	s_nop 0
	v_cndmask_b32_e64 v37, 63, v26, s[6:7]
	v_lshlrev_b32_e32 v31, 2, v37
	ds_read_b32 v38, v31 offset:21120
	v_add_u32_e32 v31, 0x5280, v31
	v_cndmask_b32_e64 v32, 0, v4, s[6:7]
	v_cndmask_b32_e64 v36, -1.0, v11, s[6:7]
	s_waitcnt lgkmcnt(0)
	v_cmp_lt_f32_e64 s[8:9], v38, v1
	s_nop 1
	v_cndmask_b32_e64 v39, v27, 32, s[8:9]
	v_lshl_add_u32 v34, v39, 2, v31
	ds_read_b32 v31, v34
	v_add_u32_e32 v39, v39, v37
	v_cndmask_b32_e64 v35, v32, v37, s[8:9]
	v_cndmask_b32_e64 v36, v36, v38, s[8:9]
	v_mov_b32_e32 v32, v39
	s_waitcnt lgkmcnt(0)
	v_cmp_lt_f32_e64 s[10:11], v31, v1
	s_and_saveexec_b64 s[14:15], s[10:11]
; %bb.21:                               ;   in Loop: Header=BB0_5 Depth=1
	v_cndmask_b32_e64 v32, v4, v28, s[6:7]
	v_cndmask_b32_e64 v33, v11, 1.0, s[6:7]
	v_cndmask_b32_e64 v32, v37, v32, s[8:9]
	v_cndmask_b32_e64 v37, v38, v33, s[8:9]
	v_mov_b32_e32 v33, 16
	v_mov_b32_e32 v35, v39
	;; [unrolled: 1-line block ×4, first 2 shown]
; %bb.22:                               ;   in Loop: Header=BB0_5 Depth=1
	s_or_b64 exec, exec, s[14:15]
	v_lshl_add_u32 v34, v33, 2, v34
	ds_read_b32 v40, v34
	v_add_u32_e32 v41, v33, v39
	v_mov_b32_e32 v39, -4
	s_waitcnt lgkmcnt(0)
	v_cmp_lt_f32_e64 s[6:7], v40, v1
	s_nop 1
	v_cndmask_b32_e64 v42, -8, 8, s[6:7]
	v_lshl_add_u32 v38, v42, 2, v34
	ds_read_b32 v34, v38
	v_cndmask_b32_e64 v37, v36, v40, s[6:7]
	v_add_u32_e32 v36, v42, v41
	v_cndmask_b32_e64 v33, v35, v41, s[6:7]
	v_mov_b32_e32 v35, v36
	s_waitcnt lgkmcnt(0)
	v_cmp_lt_f32_e64 s[8:9], v34, v1
	s_and_saveexec_b64 s[10:11], s[8:9]
; %bb.23:                               ;   in Loop: Header=BB0_5 Depth=1
	v_cndmask_b32_e64 v31, v40, v31, s[6:7]
	v_cndmask_b32_e64 v35, v41, v32, s[6:7]
	v_mov_b32_e32 v39, 4
	v_mov_b32_e32 v33, v36
	;; [unrolled: 1-line block ×4, first 2 shown]
; %bb.24:                               ;   in Loop: Header=BB0_5 Depth=1
	s_or_b64 exec, exec, s[10:11]
	v_lshl_add_u32 v31, v39, 2, v38
	ds_read_b32 v40, v31
	v_add_u32_e32 v41, v39, v36
	v_mov_b32_e32 v39, -1
	s_waitcnt lgkmcnt(0)
	v_cmp_lt_f32_e64 s[6:7], v40, v1
	s_nop 1
	v_cndmask_b32_e64 v38, -2, 2, s[6:7]
	v_lshl_add_u32 v31, v38, 2, v31
	ds_read_b32 v32, v31
	v_add_u32_e32 v38, v38, v41
	v_cndmask_b32_e64 v36, v33, v41, s[6:7]
	v_cndmask_b32_e64 v37, v37, v40, s[6:7]
	v_mov_b32_e32 v33, v38
	s_waitcnt lgkmcnt(0)
	v_cmp_lt_f32_e64 s[8:9], v32, v1
	s_and_saveexec_b64 s[10:11], s[8:9]
; %bb.25:                               ;   in Loop: Header=BB0_5 Depth=1
	v_cndmask_b32_e64 v34, v40, v34, s[6:7]
	v_cndmask_b32_e64 v33, v41, v35, s[6:7]
	v_mov_b32_e32 v39, 1
	v_mov_b32_e32 v36, v38
	;; [unrolled: 1-line block ×4, first 2 shown]
; %bb.26:                               ;   in Loop: Header=BB0_5 Depth=1
	s_or_b64 exec, exec, s[10:11]
	v_lshl_add_u32 v31, v39, 2, v31
	ds_read_b32 v35, v31
	v_add_u32_e32 v34, v39, v38
                                        ; implicit-def: $vgpr31
	s_waitcnt lgkmcnt(0)
	v_cmp_nlt_f32_e64 s[6:7], v35, v1
	s_and_saveexec_b64 s[8:9], s[6:7]
	s_xor_b64 s[8:9], exec, s[8:9]
; %bb.27:                               ;   in Loop: Header=BB0_5 Depth=1
	v_cmp_eq_u32_e64 s[6:7], 0, v36
                                        ; implicit-def: $vgpr33
                                        ; implicit-def: $vgpr32
	s_nop 1
	v_cndmask_b32_e64 v31, v37, v10, s[6:7]
	v_add_f32_e32 v31, v35, v31
	v_mul_f32_e32 v31, 0.5, v31
	v_cmp_gt_f32_e64 s[6:7], v31, v1
                                        ; implicit-def: $vgpr35
	s_nop 1
	v_cndmask_b32_e64 v31, v34, v36, s[6:7]
                                        ; implicit-def: $vgpr34
; %bb.28:                               ;   in Loop: Header=BB0_5 Depth=1
	s_andn2_saveexec_b64 s[8:9], s[8:9]
; %bb.29:                               ;   in Loop: Header=BB0_5 Depth=1
	v_cmp_eq_u32_e64 s[6:7], s19, v33
	s_nop 1
	v_cndmask_b32_e64 v31, v32, v29, s[6:7]
	v_add_f32_e32 v31, v35, v31
	v_mul_f32_e32 v31, 0.5, v31
	v_cmp_lt_f32_e64 s[6:7], v31, v1
	s_nop 1
	v_cndmask_b32_e64 v31, v34, v33, s[6:7]
; %bb.30:                               ;   in Loop: Header=BB0_5 Depth=1
	s_or_b64 exec, exec, s[8:9]
	v_cmp_lt_f32_e64 s[6:7], v11, v2
	v_mov_b32_e32 v34, -16
	s_nop 0
	v_cndmask_b32_e64 v38, 63, v26, s[6:7]
	v_lshlrev_b32_e32 v32, 2, v38
	ds_read_b32 v39, v32 offset:21120
	v_add_u32_e32 v32, 0x5280, v32
	v_cndmask_b32_e64 v33, 0, v4, s[6:7]
	v_cndmask_b32_e64 v37, -1.0, v11, s[6:7]
	s_waitcnt lgkmcnt(0)
	v_cmp_lt_f32_e64 s[8:9], v39, v2
	s_nop 1
	v_cndmask_b32_e64 v40, v27, 32, s[8:9]
	v_lshl_add_u32 v35, v40, 2, v32
	ds_read_b32 v32, v35
	v_add_u32_e32 v40, v40, v38
	v_cndmask_b32_e64 v36, v33, v38, s[8:9]
	v_cndmask_b32_e64 v37, v37, v39, s[8:9]
	v_mov_b32_e32 v33, v40
	s_waitcnt lgkmcnt(0)
	v_cmp_lt_f32_e64 s[10:11], v32, v2
	s_and_saveexec_b64 s[14:15], s[10:11]
; %bb.31:                               ;   in Loop: Header=BB0_5 Depth=1
	v_cndmask_b32_e64 v33, v4, v28, s[6:7]
	v_cndmask_b32_e64 v34, v11, 1.0, s[6:7]
	v_cndmask_b32_e64 v33, v38, v33, s[8:9]
	v_cndmask_b32_e64 v38, v39, v34, s[8:9]
	v_mov_b32_e32 v34, 16
	v_mov_b32_e32 v36, v40
	;; [unrolled: 1-line block ×4, first 2 shown]
; %bb.32:                               ;   in Loop: Header=BB0_5 Depth=1
	s_or_b64 exec, exec, s[14:15]
	v_lshl_add_u32 v35, v34, 2, v35
	ds_read_b32 v41, v35
	v_add_u32_e32 v42, v34, v40
	v_mov_b32_e32 v40, -4
	s_waitcnt lgkmcnt(0)
	v_cmp_lt_f32_e64 s[6:7], v41, v2
	s_nop 1
	v_cndmask_b32_e64 v43, -8, 8, s[6:7]
	v_lshl_add_u32 v39, v43, 2, v35
	ds_read_b32 v35, v39
	v_cndmask_b32_e64 v38, v37, v41, s[6:7]
	v_add_u32_e32 v37, v43, v42
	v_cndmask_b32_e64 v34, v36, v42, s[6:7]
	v_mov_b32_e32 v36, v37
	s_waitcnt lgkmcnt(0)
	v_cmp_lt_f32_e64 s[8:9], v35, v2
	s_and_saveexec_b64 s[10:11], s[8:9]
; %bb.33:                               ;   in Loop: Header=BB0_5 Depth=1
	v_cndmask_b32_e64 v32, v41, v32, s[6:7]
	v_cndmask_b32_e64 v36, v42, v33, s[6:7]
	v_mov_b32_e32 v40, 4
	v_mov_b32_e32 v34, v37
	;; [unrolled: 1-line block ×4, first 2 shown]
; %bb.34:                               ;   in Loop: Header=BB0_5 Depth=1
	s_or_b64 exec, exec, s[10:11]
	v_lshl_add_u32 v32, v40, 2, v39
	ds_read_b32 v41, v32
	v_add_u32_e32 v42, v40, v37
	v_mov_b32_e32 v40, -1
	s_waitcnt lgkmcnt(0)
	v_cmp_lt_f32_e64 s[6:7], v41, v2
	s_nop 1
	v_cndmask_b32_e64 v39, -2, 2, s[6:7]
	v_lshl_add_u32 v32, v39, 2, v32
	ds_read_b32 v33, v32
	v_add_u32_e32 v39, v39, v42
	v_cndmask_b32_e64 v37, v34, v42, s[6:7]
	v_cndmask_b32_e64 v38, v38, v41, s[6:7]
	v_mov_b32_e32 v34, v39
	s_waitcnt lgkmcnt(0)
	v_cmp_lt_f32_e64 s[8:9], v33, v2
	s_and_saveexec_b64 s[10:11], s[8:9]
; %bb.35:                               ;   in Loop: Header=BB0_5 Depth=1
	v_cndmask_b32_e64 v35, v41, v35, s[6:7]
	v_cndmask_b32_e64 v34, v42, v36, s[6:7]
	v_mov_b32_e32 v40, 1
	v_mov_b32_e32 v37, v39
	;; [unrolled: 1-line block ×4, first 2 shown]
; %bb.36:                               ;   in Loop: Header=BB0_5 Depth=1
	s_or_b64 exec, exec, s[10:11]
	v_lshl_add_u32 v32, v40, 2, v32
	ds_read_b32 v36, v32
	v_add_u32_e32 v35, v40, v39
                                        ; implicit-def: $vgpr32
	s_waitcnt lgkmcnt(0)
	v_cmp_nlt_f32_e64 s[6:7], v36, v2
	s_and_saveexec_b64 s[8:9], s[6:7]
	s_xor_b64 s[8:9], exec, s[8:9]
; %bb.37:                               ;   in Loop: Header=BB0_5 Depth=1
	v_cmp_eq_u32_e64 s[6:7], 0, v37
                                        ; implicit-def: $vgpr34
                                        ; implicit-def: $vgpr33
	s_nop 1
	v_cndmask_b32_e64 v32, v38, v10, s[6:7]
	v_add_f32_e32 v32, v36, v32
	v_mul_f32_e32 v32, 0.5, v32
	v_cmp_gt_f32_e64 s[6:7], v32, v2
                                        ; implicit-def: $vgpr36
	s_nop 1
	v_cndmask_b32_e64 v32, v35, v37, s[6:7]
                                        ; implicit-def: $vgpr35
; %bb.38:                               ;   in Loop: Header=BB0_5 Depth=1
	s_andn2_saveexec_b64 s[8:9], s[8:9]
; %bb.39:                               ;   in Loop: Header=BB0_5 Depth=1
	v_cmp_eq_u32_e64 s[6:7], s19, v34
	s_nop 1
	v_cndmask_b32_e64 v32, v33, v29, s[6:7]
	v_add_f32_e32 v32, v36, v32
	v_mul_f32_e32 v32, 0.5, v32
	v_cmp_lt_f32_e64 s[6:7], v32, v2
	s_nop 1
	v_cndmask_b32_e64 v32, v35, v34, s[6:7]
; %bb.40:                               ;   in Loop: Header=BB0_5 Depth=1
	s_or_b64 exec, exec, s[8:9]
	v_cmp_lt_f32_e64 s[6:7], v11, v3
	v_mov_b32_e32 v34, -16
	s_nop 0
	v_cndmask_b32_e64 v39, 63, v26, s[6:7]
	v_lshlrev_b32_e32 v33, 2, v39
	ds_read_b32 v40, v33 offset:21120
	v_add_u32_e32 v33, 0x5280, v33
	v_cndmask_b32_e64 v35, 0, v4, s[6:7]
	v_cndmask_b32_e64 v38, -1.0, v11, s[6:7]
	s_waitcnt lgkmcnt(0)
	v_cmp_lt_f32_e64 s[8:9], v40, v3
	s_nop 1
	v_cndmask_b32_e64 v41, v27, 32, s[8:9]
	v_lshl_add_u32 v37, v41, 2, v33
	ds_read_b32 v33, v37
	v_add_u32_e32 v41, v41, v39
	v_cndmask_b32_e64 v36, v35, v39, s[8:9]
	v_cndmask_b32_e64 v38, v38, v40, s[8:9]
	v_mov_b32_e32 v35, v41
	s_waitcnt lgkmcnt(0)
	v_cmp_lt_f32_e64 s[10:11], v33, v3
	s_and_saveexec_b64 s[14:15], s[10:11]
; %bb.41:                               ;   in Loop: Header=BB0_5 Depth=1
	v_cndmask_b32_e64 v11, v11, 1.0, s[6:7]
	v_cndmask_b32_e64 v34, v4, v28, s[6:7]
	v_cndmask_b32_e64 v11, v40, v11, s[8:9]
	;; [unrolled: 1-line block ×3, first 2 shown]
	v_mov_b32_e32 v34, 16
	v_mov_b32_e32 v36, v41
	;; [unrolled: 1-line block ×4, first 2 shown]
; %bb.42:                               ;   in Loop: Header=BB0_5 Depth=1
	s_or_b64 exec, exec, s[14:15]
	v_lshl_add_u32 v11, v34, 2, v37
	ds_read_b32 v42, v11
	v_add_u32_e32 v41, v34, v41
	v_mov_b32_e32 v40, -4
	s_waitcnt lgkmcnt(0)
	v_cmp_lt_f32_e64 s[6:7], v42, v3
	s_nop 1
	v_cndmask_b32_e64 v39, -8, 8, s[6:7]
	v_lshl_add_u32 v11, v39, 2, v11
	ds_read_b32 v34, v11
	v_add_u32_e32 v39, v39, v41
	v_cndmask_b32_e64 v37, v36, v41, s[6:7]
	v_cndmask_b32_e64 v38, v38, v42, s[6:7]
	v_mov_b32_e32 v36, v39
	s_waitcnt lgkmcnt(0)
	v_cmp_lt_f32_e64 s[8:9], v34, v3
	s_and_saveexec_b64 s[10:11], s[8:9]
; %bb.43:                               ;   in Loop: Header=BB0_5 Depth=1
	v_cndmask_b32_e64 v33, v42, v33, s[6:7]
	v_cndmask_b32_e64 v36, v41, v35, s[6:7]
	v_mov_b32_e32 v40, 4
	v_mov_b32_e32 v37, v39
	;; [unrolled: 1-line block ×4, first 2 shown]
; %bb.44:                               ;   in Loop: Header=BB0_5 Depth=1
	s_or_b64 exec, exec, s[10:11]
	v_lshl_add_u32 v11, v40, 2, v11
	ds_read_b32 v42, v11
	v_add_u32_e32 v43, v40, v39
	v_mov_b32_e32 v41, -1
	s_waitcnt lgkmcnt(0)
	v_cmp_lt_f32_e64 s[6:7], v42, v3
	s_nop 1
	v_cndmask_b32_e64 v33, -2, 2, s[6:7]
	v_lshl_add_u32 v39, v33, 2, v11
	ds_read_b32 v11, v39
	v_add_u32_e32 v40, v33, v43
	v_cndmask_b32_e64 v35, v37, v43, s[6:7]
	v_cndmask_b32_e64 v37, v38, v42, s[6:7]
	v_mov_b32_e32 v33, v40
	s_waitcnt lgkmcnt(0)
	v_cmp_lt_f32_e64 s[8:9], v11, v3
	s_and_saveexec_b64 s[10:11], s[8:9]
; %bb.45:                               ;   in Loop: Header=BB0_5 Depth=1
	v_cndmask_b32_e64 v34, v42, v34, s[6:7]
	v_cndmask_b32_e64 v33, v43, v36, s[6:7]
	v_mov_b32_e32 v41, 1
	v_mov_b32_e32 v35, v40
	;; [unrolled: 1-line block ×4, first 2 shown]
; %bb.46:                               ;   in Loop: Header=BB0_5 Depth=1
	s_or_b64 exec, exec, s[10:11]
	v_lshl_add_u32 v34, v41, 2, v39
	ds_read_b32 v38, v34
	v_add_u32_e32 v36, v41, v40
                                        ; implicit-def: $vgpr34
	s_waitcnt lgkmcnt(0)
	v_cmp_nlt_f32_e64 s[6:7], v38, v3
	s_and_saveexec_b64 s[8:9], s[6:7]
	s_xor_b64 s[8:9], exec, s[8:9]
; %bb.47:                               ;   in Loop: Header=BB0_5 Depth=1
	v_cmp_eq_u32_e64 s[6:7], 0, v35
                                        ; implicit-def: $vgpr33
                                        ; implicit-def: $vgpr11
                                        ; implicit-def: $vgpr29
	s_nop 1
	v_cndmask_b32_e64 v10, v37, v10, s[6:7]
	v_add_f32_e32 v10, v38, v10
	v_mul_f32_e32 v10, 0.5, v10
	v_cmp_gt_f32_e64 s[6:7], v10, v3
                                        ; implicit-def: $vgpr38
	s_nop 1
	v_cndmask_b32_e64 v34, v36, v35, s[6:7]
                                        ; implicit-def: $vgpr36
; %bb.48:                               ;   in Loop: Header=BB0_5 Depth=1
	s_andn2_saveexec_b64 s[8:9], s[8:9]
; %bb.49:                               ;   in Loop: Header=BB0_5 Depth=1
	v_cmp_eq_u32_e64 s[6:7], s19, v33
	s_nop 1
	v_cndmask_b32_e64 v10, v11, v29, s[6:7]
	v_add_f32_e32 v10, v38, v10
	v_mul_f32_e32 v10, 0.5, v10
	v_cmp_lt_f32_e64 s[6:7], v10, v3
	s_nop 1
	v_cndmask_b32_e64 v34, v36, v33, s[6:7]
; %bb.50:                               ;   in Loop: Header=BB0_5 Depth=1
	s_or_b64 exec, exec, s[8:9]
	s_barrier
	ds_write_b8 v21, v30 offset:16896
	ds_write_b8 v21, v31 offset:16897
	ds_write_b8 v21, v32 offset:16898
	ds_write_b8 v21, v34 offset:16899
	; wave barrier
	ds_read_u8 v31, v23 offset:16896
	ds_read_u8 v30, v24 offset:16896
	;; [unrolled: 1-line block ×3, first 2 shown]
	v_lshl_add_u64 v[10:11], v[8:9], 0, s[12:13]
	s_and_saveexec_b64 s[6:7], vcc
	s_xor_b64 s[6:7], exec, s[6:7]
	s_cbranch_execnz .LBB0_57
; %bb.51:                               ;   in Loop: Header=BB0_5 Depth=1
	s_or_b64 exec, exec, s[6:7]
	s_and_saveexec_b64 s[6:7], s[0:1]
	s_cbranch_execnz .LBB0_58
.LBB0_52:                               ;   in Loop: Header=BB0_5 Depth=1
	s_or_b64 exec, exec, s[6:7]
	s_and_saveexec_b64 s[0:1], s[2:3]
	s_cbranch_execnz .LBB0_59
.LBB0_53:                               ;   in Loop: Header=BB0_5 Depth=1
	s_or_b64 exec, exec, s[0:1]
	s_and_saveexec_b64 s[0:1], s[4:5]
	s_cbranch_execz .LBB0_4
	s_branch .LBB0_60
.LBB0_54:                               ;   in Loop: Header=BB0_5 Depth=1
	global_load_dword v0, v[10:11], off
	s_or_b64 exec, exec, s[0:1]
	v_cmp_gt_u32_e64 s[0:1], s6, v13
	s_and_saveexec_b64 s[2:3], s[0:1]
	s_cbranch_execz .LBB0_7
.LBB0_55:                               ;   in Loop: Header=BB0_5 Depth=1
	global_load_dword v1, v[10:11], off offset:256
	s_or_b64 exec, exec, s[2:3]
	v_cmp_gt_u32_e64 s[2:3], s6, v14
	s_and_saveexec_b64 s[4:5], s[2:3]
	s_cbranch_execz .LBB0_8
.LBB0_56:                               ;   in Loop: Header=BB0_5 Depth=1
	global_load_dword v2, v[10:11], off offset:512
	s_or_b64 exec, exec, s[4:5]
	v_cmp_gt_u32_e64 s[4:5], s6, v15
	s_and_saveexec_b64 s[6:7], s[4:5]
	s_cbranch_execnz .LBB0_9
	s_branch .LBB0_10
.LBB0_57:                               ;   in Loop: Header=BB0_5 Depth=1
	ds_read_u8 v32, v22 offset:16896
	s_waitcnt lgkmcnt(0)
	global_store_byte v[10:11], v32, off
	s_or_b64 exec, exec, s[6:7]
	s_and_saveexec_b64 s[6:7], s[0:1]
	s_cbranch_execz .LBB0_52
.LBB0_58:                               ;   in Loop: Header=BB0_5 Depth=1
	s_waitcnt lgkmcnt(2)
	global_store_byte v[10:11], v31, off offset:64
	s_or_b64 exec, exec, s[6:7]
	s_and_saveexec_b64 s[0:1], s[2:3]
	s_cbranch_execz .LBB0_53
.LBB0_59:                               ;   in Loop: Header=BB0_5 Depth=1
	s_waitcnt lgkmcnt(1)
	global_store_byte v[10:11], v30, off offset:128
	s_or_b64 exec, exec, s[0:1]
	s_and_saveexec_b64 s[0:1], s[4:5]
	s_cbranch_execz .LBB0_4
.LBB0_60:                               ;   in Loop: Header=BB0_5 Depth=1
	s_waitcnt lgkmcnt(0)
	global_store_byte v[10:11], v29, off offset:192
	s_branch .LBB0_4
.LBB0_61:
	s_endpgm
	.section	.rodata,"a",@progbits
	.p2align	6, 0x0
	.amdhsa_kernel _Z9kQuantizePfS_Phi
		.amdhsa_group_segment_fixed_size 22144
		.amdhsa_private_segment_fixed_size 0
		.amdhsa_kernarg_size 288
		.amdhsa_user_sgpr_count 2
		.amdhsa_user_sgpr_dispatch_ptr 0
		.amdhsa_user_sgpr_queue_ptr 0
		.amdhsa_user_sgpr_kernarg_segment_ptr 1
		.amdhsa_user_sgpr_dispatch_id 0
		.amdhsa_user_sgpr_kernarg_preload_length 0
		.amdhsa_user_sgpr_kernarg_preload_offset 0
		.amdhsa_user_sgpr_private_segment_size 0
		.amdhsa_uses_dynamic_stack 0
		.amdhsa_enable_private_segment 0
		.amdhsa_system_sgpr_workgroup_id_x 1
		.amdhsa_system_sgpr_workgroup_id_y 0
		.amdhsa_system_sgpr_workgroup_id_z 0
		.amdhsa_system_sgpr_workgroup_info 0
		.amdhsa_system_vgpr_workitem_id 0
		.amdhsa_next_free_vgpr 44
		.amdhsa_next_free_sgpr 21
		.amdhsa_accum_offset 44
		.amdhsa_reserve_vcc 1
		.amdhsa_float_round_mode_32 0
		.amdhsa_float_round_mode_16_64 0
		.amdhsa_float_denorm_mode_32 3
		.amdhsa_float_denorm_mode_16_64 3
		.amdhsa_dx10_clamp 1
		.amdhsa_ieee_mode 1
		.amdhsa_fp16_overflow 0
		.amdhsa_tg_split 0
		.amdhsa_exception_fp_ieee_invalid_op 0
		.amdhsa_exception_fp_denorm_src 0
		.amdhsa_exception_fp_ieee_div_zero 0
		.amdhsa_exception_fp_ieee_overflow 0
		.amdhsa_exception_fp_ieee_underflow 0
		.amdhsa_exception_fp_ieee_inexact 0
		.amdhsa_exception_int_div_zero 0
	.end_amdhsa_kernel
	.text
.Lfunc_end0:
	.size	_Z9kQuantizePfS_Phi, .Lfunc_end0-_Z9kQuantizePfS_Phi
                                        ; -- End function
	.section	.AMDGPU.csdata,"",@progbits
; Kernel info:
; codeLenInByte = 3432
; NumSgprs: 27
; NumVgprs: 44
; NumAgprs: 0
; TotalNumVgprs: 44
; ScratchSize: 0
; MemoryBound: 0
; FloatMode: 240
; IeeeMode: 1
; LDSByteSize: 22144 bytes/workgroup (compile time only)
; SGPRBlocks: 3
; VGPRBlocks: 5
; NumSGPRsForWavesPerEU: 27
; NumVGPRsForWavesPerEU: 44
; AccumOffset: 44
; Occupancy: 8
; WaveLimiterHint : 0
; COMPUTE_PGM_RSRC2:SCRATCH_EN: 0
; COMPUTE_PGM_RSRC2:USER_SGPR: 2
; COMPUTE_PGM_RSRC2:TRAP_HANDLER: 0
; COMPUTE_PGM_RSRC2:TGID_X_EN: 1
; COMPUTE_PGM_RSRC2:TGID_Y_EN: 0
; COMPUTE_PGM_RSRC2:TGID_Z_EN: 0
; COMPUTE_PGM_RSRC2:TIDIG_COMP_CNT: 0
; COMPUTE_PGM_RSRC3_GFX90A:ACCUM_OFFSET: 10
; COMPUTE_PGM_RSRC3_GFX90A:TG_SPLIT: 0
	.text
